;; amdgpu-corpus repo=ROCm/rocFFT kind=compiled arch=gfx906 opt=O3
	.text
	.amdgcn_target "amdgcn-amd-amdhsa--gfx906"
	.amdhsa_code_object_version 6
	.protected	fft_rtc_back_len208_factors_13_16_wgs_64_tpt_16_halfLds_dp_ip_CI_unitstride_sbrr_dirReg ; -- Begin function fft_rtc_back_len208_factors_13_16_wgs_64_tpt_16_halfLds_dp_ip_CI_unitstride_sbrr_dirReg
	.globl	fft_rtc_back_len208_factors_13_16_wgs_64_tpt_16_halfLds_dp_ip_CI_unitstride_sbrr_dirReg
	.p2align	8
	.type	fft_rtc_back_len208_factors_13_16_wgs_64_tpt_16_halfLds_dp_ip_CI_unitstride_sbrr_dirReg,@function
fft_rtc_back_len208_factors_13_16_wgs_64_tpt_16_halfLds_dp_ip_CI_unitstride_sbrr_dirReg: ; @fft_rtc_back_len208_factors_13_16_wgs_64_tpt_16_halfLds_dp_ip_CI_unitstride_sbrr_dirReg
; %bb.0:
	s_load_dwordx2 s[2:3], s[4:5], 0x50
	s_load_dwordx4 s[8:11], s[4:5], 0x0
	s_load_dwordx2 s[12:13], s[4:5], 0x18
	v_lshrrev_b32_e32 v26, 4, v0
	v_mov_b32_e32 v3, 0
	v_mov_b32_e32 v1, 0
	s_waitcnt lgkmcnt(0)
	v_cmp_lt_u64_e64 s[0:1], s[10:11], 2
	v_lshl_or_b32 v5, s6, 2, v26
	v_mov_b32_e32 v6, v3
	s_and_b64 vcc, exec, s[0:1]
	v_mov_b32_e32 v2, 0
	s_cbranch_vccnz .LBB0_8
; %bb.1:
	s_load_dwordx2 s[0:1], s[4:5], 0x10
	s_add_u32 s6, s12, 8
	s_addc_u32 s7, s13, 0
	v_mov_b32_e32 v1, 0
	v_mov_b32_e32 v2, 0
	s_waitcnt lgkmcnt(0)
	s_add_u32 s14, s0, 8
	s_addc_u32 s15, s1, 0
	s_mov_b64 s[16:17], 1
.LBB0_2:                                ; =>This Inner Loop Header: Depth=1
	s_load_dwordx2 s[18:19], s[14:15], 0x0
                                        ; implicit-def: $vgpr7_vgpr8
	s_waitcnt lgkmcnt(0)
	v_or_b32_e32 v4, s19, v6
	v_cmp_ne_u64_e32 vcc, 0, v[3:4]
	s_and_saveexec_b64 s[0:1], vcc
	s_xor_b64 s[20:21], exec, s[0:1]
	s_cbranch_execz .LBB0_4
; %bb.3:                                ;   in Loop: Header=BB0_2 Depth=1
	v_cvt_f32_u32_e32 v4, s18
	v_cvt_f32_u32_e32 v7, s19
	s_sub_u32 s0, 0, s18
	s_subb_u32 s1, 0, s19
	v_mac_f32_e32 v4, 0x4f800000, v7
	v_rcp_f32_e32 v4, v4
	v_mul_f32_e32 v4, 0x5f7ffffc, v4
	v_mul_f32_e32 v7, 0x2f800000, v4
	v_trunc_f32_e32 v7, v7
	v_mac_f32_e32 v4, 0xcf800000, v7
	v_cvt_u32_f32_e32 v7, v7
	v_cvt_u32_f32_e32 v4, v4
	v_mul_lo_u32 v8, s0, v7
	v_mul_hi_u32 v9, s0, v4
	v_mul_lo_u32 v11, s1, v4
	v_mul_lo_u32 v10, s0, v4
	v_add_u32_e32 v8, v9, v8
	v_add_u32_e32 v8, v8, v11
	v_mul_hi_u32 v9, v4, v10
	v_mul_lo_u32 v11, v4, v8
	v_mul_hi_u32 v13, v4, v8
	v_mul_hi_u32 v12, v7, v10
	v_mul_lo_u32 v10, v7, v10
	v_mul_hi_u32 v14, v7, v8
	v_add_co_u32_e32 v9, vcc, v9, v11
	v_addc_co_u32_e32 v11, vcc, 0, v13, vcc
	v_mul_lo_u32 v8, v7, v8
	v_add_co_u32_e32 v9, vcc, v9, v10
	v_addc_co_u32_e32 v9, vcc, v11, v12, vcc
	v_addc_co_u32_e32 v10, vcc, 0, v14, vcc
	v_add_co_u32_e32 v8, vcc, v9, v8
	v_addc_co_u32_e32 v9, vcc, 0, v10, vcc
	v_add_co_u32_e32 v4, vcc, v4, v8
	v_addc_co_u32_e32 v7, vcc, v7, v9, vcc
	v_mul_lo_u32 v8, s0, v7
	v_mul_hi_u32 v9, s0, v4
	v_mul_lo_u32 v10, s1, v4
	v_mul_lo_u32 v11, s0, v4
	v_add_u32_e32 v8, v9, v8
	v_add_u32_e32 v8, v8, v10
	v_mul_lo_u32 v12, v4, v8
	v_mul_hi_u32 v13, v4, v11
	v_mul_hi_u32 v14, v4, v8
	;; [unrolled: 1-line block ×3, first 2 shown]
	v_mul_lo_u32 v11, v7, v11
	v_mul_hi_u32 v9, v7, v8
	v_add_co_u32_e32 v12, vcc, v13, v12
	v_addc_co_u32_e32 v13, vcc, 0, v14, vcc
	v_mul_lo_u32 v8, v7, v8
	v_add_co_u32_e32 v11, vcc, v12, v11
	v_addc_co_u32_e32 v10, vcc, v13, v10, vcc
	v_addc_co_u32_e32 v9, vcc, 0, v9, vcc
	v_add_co_u32_e32 v8, vcc, v10, v8
	v_addc_co_u32_e32 v9, vcc, 0, v9, vcc
	v_add_co_u32_e32 v4, vcc, v4, v8
	v_addc_co_u32_e32 v9, vcc, v7, v9, vcc
	v_mad_u64_u32 v[7:8], s[0:1], v5, v9, 0
	v_mul_hi_u32 v10, v5, v4
	v_add_co_u32_e32 v11, vcc, v10, v7
	v_addc_co_u32_e32 v12, vcc, 0, v8, vcc
	v_mad_u64_u32 v[7:8], s[0:1], v6, v4, 0
	v_mad_u64_u32 v[9:10], s[0:1], v6, v9, 0
	v_add_co_u32_e32 v4, vcc, v11, v7
	v_addc_co_u32_e32 v4, vcc, v12, v8, vcc
	v_addc_co_u32_e32 v7, vcc, 0, v10, vcc
	v_add_co_u32_e32 v4, vcc, v4, v9
	v_addc_co_u32_e32 v9, vcc, 0, v7, vcc
	v_mul_lo_u32 v10, s19, v4
	v_mul_lo_u32 v11, s18, v9
	v_mad_u64_u32 v[7:8], s[0:1], s18, v4, 0
	v_add3_u32 v8, v8, v11, v10
	v_sub_u32_e32 v10, v6, v8
	v_mov_b32_e32 v11, s19
	v_sub_co_u32_e32 v7, vcc, v5, v7
	v_subb_co_u32_e64 v10, s[0:1], v10, v11, vcc
	v_subrev_co_u32_e64 v11, s[0:1], s18, v7
	v_subbrev_co_u32_e64 v10, s[0:1], 0, v10, s[0:1]
	v_cmp_le_u32_e64 s[0:1], s19, v10
	v_cndmask_b32_e64 v12, 0, -1, s[0:1]
	v_cmp_le_u32_e64 s[0:1], s18, v11
	v_cndmask_b32_e64 v11, 0, -1, s[0:1]
	v_cmp_eq_u32_e64 s[0:1], s19, v10
	v_cndmask_b32_e64 v10, v12, v11, s[0:1]
	v_add_co_u32_e64 v11, s[0:1], 2, v4
	v_addc_co_u32_e64 v12, s[0:1], 0, v9, s[0:1]
	v_add_co_u32_e64 v13, s[0:1], 1, v4
	v_addc_co_u32_e64 v14, s[0:1], 0, v9, s[0:1]
	v_subb_co_u32_e32 v8, vcc, v6, v8, vcc
	v_cmp_ne_u32_e64 s[0:1], 0, v10
	v_cmp_le_u32_e32 vcc, s19, v8
	v_cndmask_b32_e64 v10, v14, v12, s[0:1]
	v_cndmask_b32_e64 v12, 0, -1, vcc
	v_cmp_le_u32_e32 vcc, s18, v7
	v_cndmask_b32_e64 v7, 0, -1, vcc
	v_cmp_eq_u32_e32 vcc, s19, v8
	v_cndmask_b32_e32 v7, v12, v7, vcc
	v_cmp_ne_u32_e32 vcc, 0, v7
	v_cndmask_b32_e64 v7, v13, v11, s[0:1]
	v_cndmask_b32_e32 v8, v9, v10, vcc
	v_cndmask_b32_e32 v7, v4, v7, vcc
.LBB0_4:                                ;   in Loop: Header=BB0_2 Depth=1
	s_andn2_saveexec_b64 s[0:1], s[20:21]
	s_cbranch_execz .LBB0_6
; %bb.5:                                ;   in Loop: Header=BB0_2 Depth=1
	v_cvt_f32_u32_e32 v4, s18
	s_sub_i32 s20, 0, s18
	v_rcp_iflag_f32_e32 v4, v4
	v_mul_f32_e32 v4, 0x4f7ffffe, v4
	v_cvt_u32_f32_e32 v4, v4
	v_mul_lo_u32 v7, s20, v4
	v_mul_hi_u32 v7, v4, v7
	v_add_u32_e32 v4, v4, v7
	v_mul_hi_u32 v4, v5, v4
	v_mul_lo_u32 v7, v4, s18
	v_add_u32_e32 v8, 1, v4
	v_sub_u32_e32 v7, v5, v7
	v_subrev_u32_e32 v9, s18, v7
	v_cmp_le_u32_e32 vcc, s18, v7
	v_cndmask_b32_e32 v7, v7, v9, vcc
	v_cndmask_b32_e32 v4, v4, v8, vcc
	v_add_u32_e32 v8, 1, v4
	v_cmp_le_u32_e32 vcc, s18, v7
	v_cndmask_b32_e32 v7, v4, v8, vcc
	v_mov_b32_e32 v8, v3
.LBB0_6:                                ;   in Loop: Header=BB0_2 Depth=1
	s_or_b64 exec, exec, s[0:1]
	v_mul_lo_u32 v4, v8, s18
	v_mul_lo_u32 v11, v7, s19
	v_mad_u64_u32 v[9:10], s[0:1], v7, s18, 0
	s_load_dwordx2 s[0:1], s[6:7], 0x0
	s_add_u32 s16, s16, 1
	v_add3_u32 v4, v10, v11, v4
	v_sub_co_u32_e32 v5, vcc, v5, v9
	v_subb_co_u32_e32 v4, vcc, v6, v4, vcc
	s_waitcnt lgkmcnt(0)
	v_mul_lo_u32 v4, s0, v4
	v_mul_lo_u32 v6, s1, v5
	v_mad_u64_u32 v[1:2], s[0:1], s0, v5, v[1:2]
	s_addc_u32 s17, s17, 0
	s_add_u32 s6, s6, 8
	v_add3_u32 v2, v6, v2, v4
	v_mov_b32_e32 v4, s10
	v_mov_b32_e32 v5, s11
	s_addc_u32 s7, s7, 0
	v_cmp_ge_u64_e32 vcc, s[16:17], v[4:5]
	s_add_u32 s14, s14, 8
	s_addc_u32 s15, s15, 0
	s_cbranch_vccnz .LBB0_9
; %bb.7:                                ;   in Loop: Header=BB0_2 Depth=1
	v_mov_b32_e32 v5, v7
	v_mov_b32_e32 v6, v8
	s_branch .LBB0_2
.LBB0_8:
	v_mov_b32_e32 v8, v6
	v_mov_b32_e32 v7, v5
.LBB0_9:
	s_lshl_b64 s[0:1], s[10:11], 3
	s_add_u32 s0, s12, s0
	s_addc_u32 s1, s13, s1
	s_load_dwordx2 s[6:7], s[0:1], 0x0
	s_load_dwordx2 s[10:11], s[4:5], 0x20
	v_and_b32_e32 v87, 15, v0
	v_lshlrev_b32_e32 v86, 4, v87
                                        ; implicit-def: $vgpr50_vgpr51
                                        ; implicit-def: $vgpr38_vgpr39
                                        ; implicit-def: $vgpr30_vgpr31
                                        ; implicit-def: $vgpr18_vgpr19
                                        ; implicit-def: $vgpr10_vgpr11
                                        ; implicit-def: $vgpr14_vgpr15
                                        ; implicit-def: $vgpr46_vgpr47
                                        ; implicit-def: $vgpr54_vgpr55
                                        ; implicit-def: $vgpr58_vgpr59
                                        ; implicit-def: $vgpr22_vgpr23
                                        ; implicit-def: $vgpr42_vgpr43
	s_waitcnt lgkmcnt(0)
	v_mul_lo_u32 v3, s6, v8
	v_mul_lo_u32 v4, s7, v7
	v_mad_u64_u32 v[1:2], s[0:1], s6, v7, v[1:2]
	v_cmp_gt_u64_e32 vcc, s[10:11], v[7:8]
                                        ; implicit-def: $vgpr6_vgpr7
	v_add3_u32 v2, v4, v2, v3
	v_lshlrev_b64 v[60:61], 4, v[1:2]
                                        ; implicit-def: $vgpr2_vgpr3
	s_and_saveexec_b64 s[4:5], vcc
	s_cbranch_execz .LBB0_11
; %bb.10:
	v_mov_b32_e32 v0, s3
	v_add_co_u32_e64 v1, s[0:1], s2, v60
	v_addc_co_u32_e64 v0, s[0:1], v0, v61, s[0:1]
	v_add_co_u32_e64 v24, s[0:1], v1, v86
	v_addc_co_u32_e64 v25, s[0:1], 0, v0, s[0:1]
	global_load_dwordx4 v[40:43], v[24:25], off
	global_load_dwordx4 v[48:51], v[24:25], off offset:256
	global_load_dwordx4 v[36:39], v[24:25], off offset:512
	;; [unrolled: 1-line block ×12, first 2 shown]
.LBB0_11:
	s_or_b64 exec, exec, s[4:5]
	s_waitcnt vmcnt(0)
	v_add_f64 v[24:25], v[50:51], -v[58:59]
	s_mov_b32 s40, 0x4267c47c
	s_mov_b32 s18, 0x42a4c3d2
	;; [unrolled: 1-line block ×8, first 2 shown]
	v_add_f64 v[32:33], v[48:49], v[56:57]
	v_mul_f64 v[34:35], v[24:25], s[40:41]
	v_mul_f64 v[62:63], v[24:25], s[18:19]
	;; [unrolled: 1-line block ×4, first 2 shown]
	v_add_f64 v[74:75], v[38:39], -v[54:55]
	s_mov_b32 s6, 0xe00740e9
	s_mov_b32 s10, 0x1ea71119
	;; [unrolled: 1-line block ×14, first 2 shown]
	v_fma_f64 v[66:67], v[32:33], s[6:7], v[34:35]
	v_fma_f64 v[34:35], v[32:33], s[6:7], -v[34:35]
	v_fma_f64 v[68:69], v[32:33], s[10:11], v[62:63]
	v_fma_f64 v[70:71], v[32:33], s[4:5], v[64:65]
	;; [unrolled: 1-line block ×3, first 2 shown]
	v_add_f64 v[80:81], v[36:37], v[52:53]
	v_mul_f64 v[82:83], v[74:75], s[18:19]
	v_mul_f64 v[88:89], v[74:75], s[12:13]
	v_mul_f64 v[94:95], v[74:75], s[22:23]
	v_mul_f64 v[98:99], v[74:75], s[36:37]
	s_mov_b32 s20, 0xd0032e0c
	s_mov_b32 s26, 0x93053d00
	s_mov_b32 s21, 0xbfe7f3cc
	s_mov_b32 s27, 0xbfef11f4
	v_fma_f64 v[62:63], v[32:33], s[10:11], -v[62:63]
	v_fma_f64 v[64:65], v[32:33], s[4:5], -v[64:65]
	v_mul_f64 v[76:77], v[24:25], s[16:17]
	v_mul_f64 v[24:25], v[24:25], s[22:23]
	v_add_f64 v[66:67], v[66:67], v[40:41]
	v_fma_f64 v[92:93], v[80:81], s[10:11], v[82:83]
	v_add_f64 v[34:35], v[34:35], v[40:41]
	v_fma_f64 v[82:83], v[80:81], s[10:11], -v[82:83]
	v_add_f64 v[68:69], v[68:69], v[40:41]
	v_fma_f64 v[96:97], v[80:81], s[14:15], v[88:89]
	v_add_f64 v[70:71], v[70:71], v[40:41]
	v_fma_f64 v[100:101], v[80:81], s[26:27], v[94:95]
	;; [unrolled: 2-line block ×3, first 2 shown]
	s_mov_b32 s25, 0x3fefc445
	s_mov_b32 s24, s28
	;; [unrolled: 1-line block ×4, first 2 shown]
	v_fma_f64 v[72:73], v[32:33], s[14:15], -v[72:73]
	v_fma_f64 v[84:85], v[32:33], s[20:21], v[76:77]
	v_fma_f64 v[76:77], v[32:33], s[20:21], -v[76:77]
	v_fma_f64 v[90:91], v[32:33], s[26:27], v[24:25]
	v_add_f64 v[62:63], v[62:63], v[40:41]
	v_fma_f64 v[88:89], v[80:81], s[14:15], -v[88:89]
	v_add_f64 v[64:65], v[64:65], v[40:41]
	v_fma_f64 v[94:95], v[80:81], s[26:27], -v[94:95]
	v_fma_f64 v[24:25], v[32:33], s[26:27], -v[24:25]
	v_add_f64 v[32:33], v[92:93], v[66:67]
	v_add_f64 v[34:35], v[82:83], v[34:35]
	;; [unrolled: 1-line block ×5, first 2 shown]
	v_mul_f64 v[78:79], v[74:75], s[24:25]
	v_add_f64 v[82:83], v[30:31], -v[46:47]
	v_mul_f64 v[74:75], v[74:75], s[30:31]
	v_add_f64 v[62:63], v[88:89], v[62:63]
	v_add_f64 v[64:65], v[94:95], v[64:65]
	;; [unrolled: 1-line block ×3, first 2 shown]
	v_fma_f64 v[88:89], v[80:81], s[20:21], -v[98:99]
	v_add_f64 v[94:95], v[28:29], v[44:45]
	v_fma_f64 v[92:93], v[80:81], s[4:5], v[78:79]
	v_mul_f64 v[96:97], v[82:83], s[28:29]
	v_fma_f64 v[78:79], v[80:81], s[4:5], -v[78:79]
	v_fma_f64 v[98:99], v[80:81], s[6:7], v[74:75]
	v_fma_f64 v[74:75], v[80:81], s[6:7], -v[74:75]
	v_add_f64 v[24:25], v[24:25], v[40:41]
	v_mul_f64 v[80:81], v[82:83], s[22:23]
	v_add_f64 v[76:77], v[76:77], v[40:41]
	v_add_f64 v[90:91], v[90:91], v[40:41]
	;; [unrolled: 1-line block ×3, first 2 shown]
	v_fma_f64 v[88:89], v[94:95], s[4:5], -v[96:97]
	s_mov_b32 s43, 0x3fedeba7
	s_mov_b32 s42, s12
	v_add_f64 v[24:25], v[74:75], v[24:25]
	v_fma_f64 v[74:75], v[94:95], s[26:27], v[80:81]
	v_fma_f64 v[80:81], v[94:95], s[26:27], -v[80:81]
	v_add_f64 v[84:85], v[84:85], v[40:41]
	v_fma_f64 v[100:101], v[94:95], s[4:5], v[96:97]
	v_add_f64 v[76:77], v[78:79], v[76:77]
	v_add_f64 v[78:79], v[98:99], v[90:91]
	v_mul_f64 v[90:91], v[82:83], s[42:43]
	v_add_f64 v[34:35], v[88:89], v[34:35]
	v_mul_f64 v[88:89], v[82:83], s[30:31]
	;; [unrolled: 2-line block ×4, first 2 shown]
	v_add_f64 v[82:83], v[18:19], -v[22:23]
	v_add_f64 v[40:41], v[48:49], v[40:41]
	v_add_f64 v[84:85], v[92:93], v[84:85]
	;; [unrolled: 1-line block ×3, first 2 shown]
	v_fma_f64 v[92:93], v[94:95], s[14:15], v[90:91]
	v_fma_f64 v[90:91], v[94:95], s[14:15], -v[90:91]
	v_fma_f64 v[96:97], v[94:95], s[6:7], v[88:89]
	v_fma_f64 v[88:89], v[94:95], s[6:7], -v[88:89]
	v_fma_f64 v[98:99], v[94:95], s[10:11], v[74:75]
	v_fma_f64 v[74:75], v[94:95], s[10:11], -v[74:75]
	v_add_f64 v[100:101], v[16:17], v[20:21]
	v_mul_f64 v[102:103], v[82:83], s[12:13]
	v_fma_f64 v[104:105], v[94:95], s[20:21], v[80:81]
	v_mul_f64 v[106:107], v[82:83], s[36:37]
	v_add_f64 v[40:41], v[36:37], v[40:41]
	v_fma_f64 v[80:81], v[94:95], s[20:21], -v[80:81]
	v_add_f64 v[64:65], v[90:91], v[64:65]
	v_add_f64 v[72:73], v[88:89], v[72:73]
	;; [unrolled: 1-line block ×3, first 2 shown]
	v_fma_f64 v[88:89], v[100:101], s[14:15], v[102:103]
	v_fma_f64 v[90:91], v[100:101], s[14:15], -v[102:103]
	v_fma_f64 v[94:95], v[100:101], s[20:21], -v[106:107]
	v_add_f64 v[76:77], v[104:105], v[78:79]
	v_mul_f64 v[78:79], v[82:83], s[30:31]
	v_add_f64 v[40:41], v[28:29], v[40:41]
	s_mov_b32 s39, 0x3fcea1e5
	s_mov_b32 s38, s22
	;; [unrolled: 1-line block ×4, first 2 shown]
	v_add_f64 v[68:69], v[92:93], v[68:69]
	v_fma_f64 v[92:93], v[100:101], s[20:21], v[106:107]
	v_add_f64 v[24:25], v[80:81], v[24:25]
	v_add_f64 v[32:33], v[88:89], v[32:33]
	v_add_f64 v[34:35], v[90:91], v[34:35]
	v_add_f64 v[62:63], v[94:95], v[62:63]
	v_mul_f64 v[80:81], v[82:83], s[28:29]
	v_mul_f64 v[88:89], v[82:83], s[38:39]
	;; [unrolled: 1-line block ×3, first 2 shown]
	v_fma_f64 v[90:91], v[100:101], s[6:7], v[78:79]
	v_fma_f64 v[78:79], v[100:101], s[6:7], -v[78:79]
	v_add_f64 v[94:95], v[10:11], -v[14:15]
	v_add_f64 v[40:41], v[16:17], v[40:41]
	v_add_f64 v[70:71], v[96:97], v[70:71]
	;; [unrolled: 1-line block ×4, first 2 shown]
	v_fma_f64 v[92:93], v[100:101], s[4:5], v[80:81]
	v_fma_f64 v[80:81], v[100:101], s[4:5], -v[80:81]
	v_fma_f64 v[96:97], v[100:101], s[26:27], v[88:89]
	v_fma_f64 v[88:89], v[100:101], s[26:27], -v[88:89]
	;; [unrolled: 2-line block ×3, first 2 shown]
	v_add_f64 v[100:101], v[8:9], v[12:13]
	v_mul_f64 v[102:103], v[94:95], s[16:17]
	v_add_f64 v[64:65], v[78:79], v[64:65]
	v_mul_f64 v[78:79], v[94:95], s[24:25]
	v_add_f64 v[40:41], v[8:9], v[40:41]
	v_add_f64 v[68:69], v[90:91], v[68:69]
	;; [unrolled: 1-line block ×5, first 2 shown]
	v_fma_f64 v[84:85], v[100:101], s[20:21], v[102:103]
	v_fma_f64 v[88:89], v[100:101], s[20:21], -v[102:103]
	v_fma_f64 v[90:91], v[100:101], s[4:5], v[78:79]
	v_fma_f64 v[78:79], v[100:101], s[4:5], -v[78:79]
	v_add_f64 v[40:41], v[4:5], v[40:41]
	v_add_f64 v[70:71], v[92:93], v[70:71]
	;; [unrolled: 1-line block ×3, first 2 shown]
	v_mul_f64 v[82:83], v[94:95], s[18:19]
	v_add_f64 v[32:33], v[84:85], v[32:33]
	v_add_f64 v[34:35], v[88:89], v[34:35]
	v_mul_f64 v[84:85], v[94:95], s[38:39]
	v_add_f64 v[78:79], v[78:79], v[62:63]
	v_mul_f64 v[62:63], v[94:95], s[30:31]
	v_mul_f64 v[88:89], v[94:95], s[12:13]
	v_add_f64 v[92:93], v[6:7], -v[2:3]
	v_add_f64 v[40:41], v[0:1], v[40:41]
	v_add_f64 v[76:77], v[98:99], v[76:77]
	v_add_f64 v[66:67], v[90:91], v[66:67]
	v_fma_f64 v[90:91], v[100:101], s[10:11], v[82:83]
	v_fma_f64 v[82:83], v[100:101], s[10:11], -v[82:83]
	v_fma_f64 v[94:95], v[100:101], s[26:27], v[84:85]
	v_fma_f64 v[84:85], v[100:101], s[26:27], -v[84:85]
	;; [unrolled: 2-line block ×3, first 2 shown]
	v_fma_f64 v[98:99], v[100:101], s[14:15], v[88:89]
	v_add_f64 v[102:103], v[0:1], v[4:5]
	v_mul_f64 v[104:105], v[92:93], s[22:23]
	v_fma_f64 v[88:89], v[100:101], s[14:15], -v[88:89]
	v_mul_f64 v[100:101], v[92:93], s[30:31]
	v_add_f64 v[40:41], v[12:13], v[40:41]
	v_add_f64 v[68:69], v[90:91], v[68:69]
	;; [unrolled: 1-line block ×5, first 2 shown]
	v_fma_f64 v[70:71], v[102:103], s[26:27], v[104:105]
	v_add_f64 v[88:89], v[88:89], v[24:25]
	v_fma_f64 v[80:81], v[102:103], s[6:7], v[100:101]
	v_add_f64 v[24:25], v[20:21], v[40:41]
	v_add_f64 v[64:65], v[82:83], v[64:65]
	;; [unrolled: 1-line block ×3, first 2 shown]
	v_fma_f64 v[82:83], v[102:103], s[6:7], -v[100:101]
	v_add_f64 v[94:95], v[98:99], v[76:77]
	v_add_f64 v[62:63], v[70:71], v[32:33]
	v_mul_f64 v[32:33], v[92:93], s[16:17]
	v_add_f64 v[80:81], v[80:81], v[66:67]
	v_mul_f64 v[40:41], v[92:93], s[34:35]
	v_mul_f64 v[66:67], v[92:93], s[12:13]
	;; [unrolled: 1-line block ×3, first 2 shown]
	v_add_f64 v[24:25], v[44:45], v[24:25]
	v_add_f64 v[70:71], v[82:83], v[78:79]
	v_fma_f64 v[78:79], v[102:103], s[26:27], -v[104:105]
	v_fma_f64 v[82:83], v[102:103], s[20:21], v[32:33]
	v_fma_f64 v[32:33], v[102:103], s[20:21], -v[32:33]
	v_fma_f64 v[92:93], v[102:103], s[10:11], v[40:41]
	;; [unrolled: 2-line block ×4, first 2 shown]
	v_add_f64 v[104:105], v[52:53], v[24:25]
	v_fma_f64 v[102:103], v[102:103], s[4:5], -v[76:77]
	v_add_f64 v[76:77], v[82:83], v[68:69]
	v_add_f64 v[82:83], v[32:33], v[64:65]
	;; [unrolled: 1-line block ×9, first 2 shown]
	v_mul_u32_u24_e32 v32, 0xd0, v26
	v_add_f64 v[26:27], v[78:79], v[34:35]
	s_movk_i32 s0, 0x68
	v_mad_u32_u24 v34, v87, s0, 0
	v_lshl_add_u32 v88, v32, 3, v34
	v_cmp_gt_u32_e64 s[0:1], 13, v87
	v_lshlrev_b32_e32 v89, 3, v32
	v_lshlrev_b32_e32 v90, 3, v87
	ds_write2_b64 v88, v[40:41], v[62:63] offset1:1
	ds_write2_b64 v88, v[80:81], v[76:77] offset0:2 offset1:3
	ds_write2_b64 v88, v[68:69], v[66:67] offset0:4 offset1:5
	;; [unrolled: 1-line block ×5, first 2 shown]
	ds_write_b64 v88, v[26:27] offset:96
	s_waitcnt lgkmcnt(0)
	; wave barrier
	s_waitcnt lgkmcnt(0)
                                        ; implicit-def: $vgpr72_vgpr73
                                        ; implicit-def: $vgpr32_vgpr33
	s_and_saveexec_b64 s[44:45], s[0:1]
	s_cbranch_execz .LBB0_13
; %bb.12:
	v_mul_i32_i24_e32 v24, 0xffffffa0, v87
	v_add3_u32 v40, 0, v89, v90
	v_add3_u32 v70, v34, v24, v89
	ds_read2_b64 v[62:65], v70 offset0:13 offset1:26
	ds_read2_b64 v[66:69], v70 offset0:39 offset1:52
	;; [unrolled: 1-line block ×7, first 2 shown]
	ds_read_b64 v[40:41], v40
	ds_read_b64 v[72:73], v70 offset:1560
	s_waitcnt lgkmcnt(7)
	v_mov_b32_e32 v77, v67
	v_mov_b32_e32 v81, v65
	;; [unrolled: 1-line block ×3, first 2 shown]
	s_waitcnt lgkmcnt(6)
	v_mov_b32_e32 v66, v82
	s_waitcnt lgkmcnt(3)
	v_mov_b32_e32 v71, v25
	v_mov_b32_e32 v80, v64
	v_mov_b32_e32 v67, v83
	v_mov_b32_e32 v74, v91
	v_mov_b32_e32 v64, v93
	v_mov_b32_e32 v82, v97
	v_mov_b32_e32 v70, v24
	v_mov_b32_e32 v24, v95
	v_mov_b32_e32 v75, v92
	v_mov_b32_e32 v65, v94
	v_mov_b32_e32 v83, v98
	v_mov_b32_e32 v25, v96
.LBB0_13:
	s_or_b64 exec, exec, s[44:45]
	v_add_f64 v[78:79], v[50:51], v[42:43]
	v_add_f64 v[48:49], v[48:49], -v[56:57]
	v_add_f64 v[50:51], v[50:51], v[58:59]
	v_add_f64 v[36:37], v[36:37], -v[52:53]
	v_add_f64 v[28:29], v[28:29], -v[44:45]
	;; [unrolled: 1-line block ×5, first 2 shown]
	v_add_f64 v[78:79], v[38:39], v[78:79]
	v_mul_f64 v[56:57], v[48:49], s[40:41]
	v_mul_f64 v[91:92], v[48:49], s[18:19]
	;; [unrolled: 1-line block ×6, first 2 shown]
	v_add_f64 v[38:39], v[38:39], v[54:55]
	v_add_f64 v[78:79], v[30:31], v[78:79]
	v_mul_f64 v[52:53], v[36:37], s[12:13]
	v_fma_f64 v[93:94], v[50:51], s[10:11], -v[91:92]
	v_fma_f64 v[91:92], v[50:51], s[10:11], v[91:92]
	v_fma_f64 v[97:98], v[50:51], s[4:5], -v[95:96]
	v_fma_f64 v[95:96], v[50:51], s[4:5], v[95:96]
	v_fma_f64 v[101:102], v[50:51], s[14:15], -v[99:100]
	v_fma_f64 v[99:100], v[50:51], s[14:15], v[99:100]
	v_add_f64 v[78:79], v[18:19], v[78:79]
	v_fma_f64 v[105:106], v[50:51], s[20:21], -v[103:104]
	v_fma_f64 v[103:104], v[50:51], s[20:21], v[103:104]
	v_fma_f64 v[107:108], v[50:51], s[26:27], -v[48:49]
	v_fma_f64 v[48:49], v[50:51], s[26:27], v[48:49]
	v_add_f64 v[93:94], v[93:94], v[42:43]
	v_add_f64 v[91:92], v[91:92], v[42:43]
	;; [unrolled: 1-line block ×12, first 2 shown]
	v_mul_f64 v[44:45], v[28:29], s[22:23]
	v_add_f64 v[18:19], v[18:19], v[22:23]
	v_mul_f64 v[20:21], v[16:17], s[12:13]
	v_add_f64 v[10:11], v[10:11], v[14:15]
	;; [unrolled: 2-line block ×3, first 2 shown]
	s_waitcnt lgkmcnt(0)
	v_add_f64 v[78:79], v[2:3], v[78:79]
	v_mul_f64 v[2:3], v[4:5], s[22:23]
	; wave barrier
	v_add_f64 v[78:79], v[14:15], v[78:79]
	v_fma_f64 v[14:15], v[10:11], s[20:21], -v[12:13]
	v_fma_f64 v[12:13], v[10:11], s[20:21], v[12:13]
	v_fma_f64 v[0:1], v[6:7], s[26:27], -v[2:3]
	v_fma_f64 v[2:3], v[6:7], s[26:27], v[2:3]
	v_add_f64 v[78:79], v[22:23], v[78:79]
	v_fma_f64 v[22:23], v[18:19], s[14:15], -v[20:21]
	v_fma_f64 v[20:21], v[18:19], s[14:15], v[20:21]
	v_add_f64 v[78:79], v[46:47], v[78:79]
	;; [unrolled: 3-line block ×5, first 2 shown]
	v_mul_f64 v[91:92], v[36:37], s[36:37]
	v_add_f64 v[54:55], v[54:55], v[93:94]
	v_add_f64 v[58:59], v[58:59], v[42:43]
	;; [unrolled: 1-line block ×4, first 2 shown]
	v_mul_f64 v[48:49], v[36:37], s[18:19]
	v_fma_f64 v[93:94], v[38:39], s[20:21], -v[91:92]
	v_fma_f64 v[91:92], v[38:39], s[20:21], v[91:92]
	v_add_f64 v[44:45], v[44:45], v[52:53]
	v_mul_f64 v[52:53], v[28:29], s[30:31]
	v_add_f64 v[46:47], v[46:47], v[54:55]
	v_fma_f64 v[50:51], v[38:39], s[10:11], -v[48:49]
	v_fma_f64 v[48:49], v[38:39], s[10:11], v[48:49]
	v_add_f64 v[91:92], v[91:92], v[99:100]
	v_add_f64 v[93:94], v[93:94], v[101:102]
	v_fma_f64 v[54:55], v[30:31], s[6:7], -v[52:53]
	v_fma_f64 v[52:53], v[30:31], s[6:7], v[52:53]
	v_add_f64 v[50:51], v[50:51], v[58:59]
	v_add_f64 v[48:49], v[48:49], v[56:57]
	v_mul_f64 v[56:57], v[36:37], s[22:23]
	v_add_f64 v[54:55], v[54:55], v[93:94]
	v_add_f64 v[52:53], v[52:53], v[91:92]
	v_fma_f64 v[58:59], v[38:39], s[26:27], -v[56:57]
	v_fma_f64 v[56:57], v[38:39], s[26:27], v[56:57]
	v_add_f64 v[58:59], v[58:59], v[97:98]
	v_add_f64 v[56:57], v[56:57], v[95:96]
	v_mul_f64 v[95:96], v[36:37], s[24:25]
	v_mul_f64 v[36:37], v[36:37], s[30:31]
	v_fma_f64 v[97:98], v[38:39], s[4:5], -v[95:96]
	v_fma_f64 v[95:96], v[38:39], s[4:5], v[95:96]
	v_fma_f64 v[99:100], v[38:39], s[6:7], -v[36:37]
	v_fma_f64 v[36:37], v[38:39], s[6:7], v[36:37]
	v_mul_f64 v[38:39], v[28:29], s[28:29]
	v_add_f64 v[97:98], v[97:98], v[105:106]
	v_add_f64 v[95:96], v[95:96], v[103:104]
	;; [unrolled: 1-line block ×4, first 2 shown]
	v_fma_f64 v[42:43], v[30:31], s[4:5], -v[38:39]
	v_fma_f64 v[38:39], v[30:31], s[4:5], v[38:39]
	v_add_f64 v[42:43], v[42:43], v[50:51]
	v_add_f64 v[38:39], v[38:39], v[48:49]
	v_mul_f64 v[48:49], v[28:29], s[42:43]
	v_add_f64 v[22:23], v[22:23], v[42:43]
	v_add_f64 v[20:21], v[20:21], v[38:39]
	v_fma_f64 v[50:51], v[30:31], s[14:15], -v[48:49]
	v_fma_f64 v[48:49], v[30:31], s[14:15], v[48:49]
	v_mul_f64 v[38:39], v[16:17], s[30:31]
	v_add_f64 v[14:15], v[14:15], v[22:23]
	v_add_f64 v[12:13], v[12:13], v[20:21]
	;; [unrolled: 1-line block ×4, first 2 shown]
	v_mul_f64 v[56:57], v[28:29], s[18:19]
	v_mul_f64 v[28:29], v[28:29], s[16:17]
	v_fma_f64 v[42:43], v[18:19], s[6:7], -v[38:39]
	v_fma_f64 v[38:39], v[18:19], s[6:7], v[38:39]
	v_mul_f64 v[22:23], v[8:9], s[18:19]
	v_add_f64 v[2:3], v[2:3], v[12:13]
	v_add_f64 v[0:1], v[0:1], v[14:15]
	v_fma_f64 v[58:59], v[30:31], s[10:11], -v[56:57]
	v_fma_f64 v[56:57], v[30:31], s[10:11], v[56:57]
	v_fma_f64 v[91:92], v[30:31], s[20:21], -v[28:29]
	v_fma_f64 v[28:29], v[30:31], s[20:21], v[28:29]
	v_mul_f64 v[30:31], v[16:17], s[36:37]
	v_add_f64 v[38:39], v[38:39], v[48:49]
	v_mul_f64 v[48:49], v[16:17], s[38:39]
	v_add_f64 v[42:43], v[42:43], v[50:51]
	v_add_f64 v[58:59], v[58:59], v[97:98]
	;; [unrolled: 1-line block ×5, first 2 shown]
	v_fma_f64 v[36:37], v[18:19], s[20:21], -v[30:31]
	v_fma_f64 v[30:31], v[18:19], s[20:21], v[30:31]
	v_fma_f64 v[50:51], v[18:19], s[26:27], -v[48:49]
	v_fma_f64 v[48:49], v[18:19], s[26:27], v[48:49]
	v_add_f64 v[36:37], v[36:37], v[46:47]
	v_add_f64 v[30:31], v[30:31], v[44:45]
	v_mul_f64 v[44:45], v[16:17], s[28:29]
	v_mul_f64 v[16:17], v[16:17], s[34:35]
	v_add_f64 v[48:49], v[48:49], v[56:57]
	v_add_f64 v[50:51], v[50:51], v[58:59]
	v_fma_f64 v[46:47], v[18:19], s[4:5], -v[44:45]
	v_fma_f64 v[44:45], v[18:19], s[4:5], v[44:45]
	v_add_f64 v[46:47], v[46:47], v[54:55]
	v_add_f64 v[44:45], v[44:45], v[52:53]
	v_fma_f64 v[52:53], v[18:19], s[10:11], -v[16:17]
	v_fma_f64 v[16:17], v[18:19], s[10:11], v[16:17]
	v_mul_f64 v[18:19], v[8:9], s[24:25]
	v_add_f64 v[52:53], v[52:53], v[91:92]
	v_add_f64 v[16:17], v[16:17], v[28:29]
	v_fma_f64 v[20:21], v[10:11], s[4:5], -v[18:19]
	v_fma_f64 v[18:19], v[10:11], s[4:5], v[18:19]
	v_fma_f64 v[28:29], v[10:11], s[10:11], -v[22:23]
	v_fma_f64 v[22:23], v[10:11], s[10:11], v[22:23]
	v_add_f64 v[20:21], v[20:21], v[36:37]
	v_add_f64 v[18:19], v[18:19], v[30:31]
	v_mul_f64 v[30:31], v[8:9], s[38:39]
	v_add_f64 v[22:23], v[22:23], v[38:39]
	v_add_f64 v[28:29], v[28:29], v[42:43]
	v_fma_f64 v[36:37], v[10:11], s[26:27], -v[30:31]
	v_fma_f64 v[30:31], v[10:11], s[26:27], v[30:31]
	v_add_f64 v[36:37], v[36:37], v[46:47]
	v_add_f64 v[38:39], v[30:31], v[44:45]
	v_mul_f64 v[30:31], v[8:9], s[30:31]
	v_mul_f64 v[8:9], v[8:9], s[12:13]
	v_fma_f64 v[42:43], v[10:11], s[6:7], -v[30:31]
	v_fma_f64 v[30:31], v[10:11], s[6:7], v[30:31]
	v_add_f64 v[42:43], v[42:43], v[50:51]
	v_add_f64 v[44:45], v[30:31], v[48:49]
	v_fma_f64 v[30:31], v[10:11], s[14:15], -v[8:9]
	v_fma_f64 v[8:9], v[10:11], s[14:15], v[8:9]
	v_add_f64 v[46:47], v[30:31], v[52:53]
	v_add_f64 v[48:49], v[8:9], v[16:17]
	v_mul_f64 v[8:9], v[4:5], s[30:31]
	v_fma_f64 v[10:11], v[6:7], s[6:7], -v[8:9]
	v_fma_f64 v[8:9], v[6:7], s[6:7], v[8:9]
	v_add_f64 v[30:31], v[10:11], v[20:21]
	v_add_f64 v[16:17], v[8:9], v[18:19]
	v_mul_f64 v[8:9], v[4:5], s[16:17]
	v_fma_f64 v[10:11], v[6:7], s[20:21], -v[8:9]
	v_fma_f64 v[8:9], v[6:7], s[20:21], v[8:9]
	v_add_f64 v[18:19], v[10:11], v[28:29]
	v_mul_f64 v[10:11], v[4:5], s[34:35]
	v_add_f64 v[28:29], v[8:9], v[22:23]
	v_fma_f64 v[8:9], v[6:7], s[10:11], -v[10:11]
	v_fma_f64 v[10:11], v[6:7], s[10:11], v[10:11]
	v_add_f64 v[8:9], v[8:9], v[36:37]
	v_add_f64 v[12:13], v[10:11], v[38:39]
	v_mul_f64 v[10:11], v[4:5], s[12:13]
	v_mul_f64 v[4:5], v[4:5], s[24:25]
	v_fma_f64 v[14:15], v[6:7], s[14:15], -v[10:11]
	v_fma_f64 v[10:11], v[6:7], s[14:15], v[10:11]
	v_fma_f64 v[20:21], v[6:7], s[4:5], -v[4:5]
	v_fma_f64 v[4:5], v[6:7], s[4:5], v[4:5]
	v_add_f64 v[14:15], v[14:15], v[42:43]
	v_add_f64 v[10:11], v[10:11], v[44:45]
	;; [unrolled: 1-line block ×4, first 2 shown]
	ds_write2_b64 v88, v[78:79], v[0:1] offset1:1
	ds_write2_b64 v88, v[30:31], v[18:19] offset0:2 offset1:3
	ds_write2_b64 v88, v[8:9], v[14:15] offset0:4 offset1:5
	;; [unrolled: 1-line block ×5, first 2 shown]
	ds_write_b64 v88, v[2:3] offset:96
	s_waitcnt lgkmcnt(0)
	; wave barrier
	s_waitcnt lgkmcnt(0)
                                        ; implicit-def: $vgpr4_vgpr5
                                        ; implicit-def: $vgpr20_vgpr21
	s_and_saveexec_b64 s[4:5], s[0:1]
	s_cbranch_execnz .LBB0_16
; %bb.14:
	s_or_b64 exec, exec, s[4:5]
	s_and_b64 s[0:1], vcc, s[0:1]
	s_and_saveexec_b64 s[4:5], s[0:1]
	s_cbranch_execnz .LBB0_17
.LBB0_15:
	s_endpgm
.LBB0_16:
	v_add3_u32 v17, 0, v90, v89
	v_add3_u32 v16, 0, v89, v90
	ds_read2_b64 v[42:45], v17 offset0:13 offset1:26
	ds_read2_b64 v[46:49], v17 offset0:39 offset1:52
	;; [unrolled: 1-line block ×7, first 2 shown]
	ds_read_b64 v[78:79], v16
	ds_read_b64 v[20:21], v17 offset:1560
	s_waitcnt lgkmcnt(4)
	v_mov_b32_e32 v29, v15
	s_waitcnt lgkmcnt(3)
	v_mov_b32_e32 v17, v1
	v_mov_b32_e32 v23, v9
	;; [unrolled: 1-line block ×17, first 2 shown]
	s_or_b64 exec, exec, s[4:5]
	s_and_b64 s[0:1], vcc, s[0:1]
	s_and_saveexec_b64 s[4:5], s[0:1]
	s_cbranch_execz .LBB0_15
.LBB0_17:
	v_mul_u32_u24_e32 v38, 15, v87
	v_lshlrev_b32_e32 v117, 4, v38
	global_load_dwordx4 v[42:45], v117, s[8:9] offset:16
	global_load_dwordx4 v[46:49], v117, s[8:9] offset:144
	;; [unrolled: 1-line block ×5, first 2 shown]
	global_load_dwordx4 v[91:94], v117, s[8:9]
	global_load_dwordx4 v[95:98], v117, s[8:9] offset:160
	global_load_dwordx4 v[99:102], v117, s[8:9] offset:128
	;; [unrolled: 1-line block ×5, first 2 shown]
	s_mov_b32 s0, 0x667f3bcd
	s_mov_b32 s1, 0x3fe6a09e
	;; [unrolled: 1-line block ×9, first 2 shown]
	v_add_co_u32_e32 v60, vcc, s2, v60
	s_waitcnt vmcnt(10)
	v_mul_f64 v[38:39], v[80:81], v[44:45]
	v_mul_f64 v[44:45], v[30:31], v[44:45]
	s_waitcnt vmcnt(9)
	v_mul_f64 v[58:59], v[82:83], v[48:49]
	v_mul_f64 v[48:49], v[28:29], v[48:49]
	v_fma_f64 v[115:116], v[30:31], v[42:43], -v[38:39]
	s_waitcnt vmcnt(8)
	v_mul_f64 v[38:39], v[36:37], v[52:53]
	v_mul_f64 v[52:53], v[84:85], v[52:53]
	v_fma_f64 v[80:81], v[80:81], v[42:43], v[44:45]
	global_load_dwordx4 v[42:45], v117, s[8:9] offset:64
	v_fma_f64 v[58:59], v[28:29], v[46:47], -v[58:59]
	v_fma_f64 v[82:83], v[82:83], v[46:47], v[48:49]
	global_load_dwordx4 v[28:31], v117, s[8:9] offset:192
	global_load_dwordx4 v[46:49], v117, s[8:9] offset:176
	v_fma_f64 v[84:85], v[84:85], v[50:51], v[38:39]
	v_fma_f64 v[50:51], v[36:37], v[50:51], -v[52:53]
	global_load_dwordx4 v[36:39], v117, s[8:9] offset:224
	s_waitcnt vmcnt(11)
	v_mul_f64 v[52:53], v[76:77], v[56:57]
	v_mul_f64 v[56:57], v[18:19], v[56:57]
	s_mov_b32 s8, 0xa6aea964
	s_mov_b32 s9, 0xbfd87de2
	;; [unrolled: 1-line block ×3, first 2 shown]
	v_fma_f64 v[18:19], v[18:19], v[54:55], -v[52:53]
	s_waitcnt vmcnt(8)
	v_mul_f64 v[52:53], v[70:71], v[97:98]
	v_fma_f64 v[54:55], v[76:77], v[54:55], v[56:57]
	v_mul_f64 v[56:57], v[16:17], v[97:98]
	s_waitcnt vmcnt(5)
	v_mul_f64 v[76:77], v[22:23], v[109:110]
	v_mul_f64 v[97:98], v[74:75], v[109:110]
	s_waitcnt vmcnt(4)
	v_mul_f64 v[109:110], v[34:35], v[113:114]
	v_fma_f64 v[16:17], v[16:17], v[95:96], -v[52:53]
	s_waitcnt lgkmcnt(2)
	v_mul_f64 v[52:53], v[6:7], v[113:114]
	v_fma_f64 v[56:57], v[70:71], v[95:96], v[56:57]
	v_mul_f64 v[70:71], v[64:65], v[105:106]
	v_mul_f64 v[95:96], v[8:9], v[89:90]
	v_fma_f64 v[74:75], v[74:75], v[107:108], v[76:77]
	v_fma_f64 v[22:23], v[22:23], v[107:108], -v[97:98]
	v_mul_f64 v[107:108], v[62:63], v[93:94]
	v_mul_f64 v[113:114], v[24:25], v[101:102]
	v_fma_f64 v[34:35], v[34:35], v[111:112], v[52:53]
	v_fma_f64 v[6:7], v[6:7], v[111:112], -v[109:110]
	v_fma_f64 v[70:71], v[10:11], v[103:104], -v[70:71]
	v_fma_f64 v[95:96], v[68:69], v[87:88], v[95:96]
	v_mul_f64 v[68:69], v[68:69], v[89:90]
	v_mul_f64 v[10:11], v[10:11], v[105:106]
	v_add_f64 v[16:17], v[18:19], -v[16:17]
	v_add_f64 v[6:7], v[50:51], -v[6:7]
	v_fma_f64 v[8:9], v[8:9], v[87:88], -v[68:69]
	v_fma_f64 v[10:11], v[64:65], v[103:104], v[10:11]
	v_add_f64 v[10:11], v[40:41], -v[10:11]
	s_waitcnt vmcnt(3)
	v_mul_f64 v[52:53], v[14:15], v[44:45]
	v_mul_f64 v[44:45], v[66:67], v[44:45]
	s_waitcnt vmcnt(2)
	v_mul_f64 v[76:77], v[4:5], v[30:31]
	s_waitcnt vmcnt(1)
	v_mul_f64 v[97:98], v[2:3], v[48:49]
	v_mul_f64 v[30:31], v[32:33], v[30:31]
	s_waitcnt vmcnt(0) lgkmcnt(0)
	v_mul_f64 v[109:110], v[20:21], v[38:39]
	v_fma_f64 v[52:53], v[66:67], v[42:43], v[52:53]
	v_fma_f64 v[14:15], v[14:15], v[42:43], -v[44:45]
	v_fma_f64 v[76:77], v[32:33], v[28:29], v[76:77]
	v_mul_f64 v[32:33], v[72:73], v[38:39]
	v_fma_f64 v[38:39], v[26:27], v[46:47], v[97:98]
	v_mul_f64 v[26:27], v[26:27], v[48:49]
	v_mul_f64 v[48:49], v[0:1], v[93:94]
	v_fma_f64 v[0:1], v[0:1], v[91:92], -v[107:108]
	v_mul_f64 v[93:94], v[12:13], v[101:102]
	v_fma_f64 v[12:13], v[12:13], v[99:100], -v[113:114]
	v_fma_f64 v[66:67], v[72:73], v[36:37], v[109:110]
	v_fma_f64 v[20:21], v[20:21], v[36:37], -v[32:33]
	v_fma_f64 v[4:5], v[4:5], v[28:29], -v[30:31]
	;; [unrolled: 1-line block ×3, first 2 shown]
	v_fma_f64 v[32:33], v[62:63], v[91:92], v[48:49]
	v_add_f64 v[28:29], v[84:85], -v[34:35]
	v_fma_f64 v[24:25], v[24:25], v[99:100], v[93:94]
	v_add_f64 v[34:35], v[95:96], -v[38:39]
	v_add_f64 v[12:13], v[0:1], -v[12:13]
	;; [unrolled: 1-line block ×16, first 2 shown]
	v_add_f64 v[56:57], v[36:37], v[6:7]
	v_add_f64 v[64:65], v[44:45], v[20:21]
	;; [unrolled: 1-line block ×4, first 2 shown]
	v_fma_f64 v[72:73], v[0:1], 2.0, -v[12:13]
	v_fma_f64 v[0:1], v[14:15], 2.0, -v[4:5]
	v_fma_f64 v[14:15], v[62:63], s[0:1], v[58:59]
	v_fma_f64 v[70:71], v[78:79], 2.0, -v[30:31]
	v_fma_f64 v[2:3], v[8:9], 2.0, -v[2:3]
	v_fma_f64 v[4:5], v[46:47], s[0:1], v[48:49]
	;; [unrolled: 3-line block ×3, first 2 shown]
	v_fma_f64 v[74:75], v[56:57], s[0:1], v[68:69]
	v_fma_f64 v[78:79], v[64:65], s[4:5], v[14:15]
	v_fma_f64 v[14:15], v[18:19], 2.0, -v[16:17]
	v_fma_f64 v[18:19], v[115:116], 2.0, -v[26:27]
	;; [unrolled: 1-line block ×7, first 2 shown]
	v_fma_f64 v[76:77], v[56:57], s[4:5], v[4:5]
	v_fma_f64 v[4:5], v[22:23], 2.0, -v[20:21]
	v_fma_f64 v[20:21], v[40:41], 2.0, -v[10:11]
	v_fma_f64 v[40:41], v[62:63], s[0:1], v[52:53]
	v_fma_f64 v[50:51], v[46:47], s[0:1], v[74:75]
	v_fma_f64 v[34:35], v[95:96], 2.0, -v[34:35]
	v_add_f64 v[52:53], v[70:71], -v[2:3]
	v_add_f64 v[74:75], v[72:73], -v[0:1]
	;; [unrolled: 1-line block ×3, first 2 shown]
	v_fma_f64 v[0:1], v[26:27], 2.0, -v[46:47]
	v_fma_f64 v[2:3], v[36:37], 2.0, -v[56:57]
	;; [unrolled: 1-line block ×5, first 2 shown]
	v_add_f64 v[28:29], v[8:9], -v[28:29]
	v_add_f64 v[42:43], v[54:55], -v[42:43]
	;; [unrolled: 1-line block ×5, first 2 shown]
	v_fma_f64 v[30:31], v[30:31], 2.0, -v[48:49]
	v_fma_f64 v[36:37], v[12:13], 2.0, -v[58:59]
	;; [unrolled: 1-line block ×3, first 2 shown]
	v_fma_f64 v[16:17], v[6:7], s[4:5], v[44:45]
	v_fma_f64 v[24:25], v[2:3], s[4:5], v[46:47]
	v_add_f64 v[56:57], v[52:53], -v[28:29]
	v_add_f64 v[62:63], v[74:75], -v[42:43]
	v_add_f64 v[64:65], v[38:39], v[80:81]
	v_add_f64 v[84:85], v[82:83], v[34:35]
	v_fma_f64 v[10:11], v[0:1], s[4:5], v[30:31]
	v_fma_f64 v[12:13], v[4:5], s[4:5], v[36:37]
	;; [unrolled: 1-line block ×5, first 2 shown]
	v_fma_f64 v[70:71], v[70:71], 2.0, -v[52:53]
	v_fma_f64 v[16:17], v[18:19], 2.0, -v[82:83]
	;; [unrolled: 1-line block ×4, first 2 shown]
	v_fma_f64 v[87:88], v[62:63], s[0:1], v[56:57]
	v_fma_f64 v[22:23], v[78:79], s[6:7], v[76:77]
	;; [unrolled: 1-line block ×7, first 2 shown]
	v_fma_f64 v[42:43], v[20:21], 2.0, -v[34:35]
	v_fma_f64 v[20:21], v[8:9], 2.0, -v[28:29]
	;; [unrolled: 1-line block ×4, first 2 shown]
	v_add_f64 v[72:73], v[70:71], -v[16:17]
	v_add_f64 v[80:81], v[32:33], -v[18:19]
	v_fma_f64 v[6:7], v[64:65], s[4:5], v[87:88]
	v_fma_f64 v[2:3], v[40:41], s[8:9], v[22:23]
	;; [unrolled: 1-line block ×4, first 2 shown]
	v_add_f64 v[82:83], v[42:43], -v[20:21]
	v_add_f64 v[87:88], v[54:55], -v[14:15]
	v_fma_f64 v[12:13], v[50:51], 2.0, -v[0:1]
	v_add_f64 v[26:27], v[72:73], -v[80:81]
	v_fma_f64 v[40:41], v[66:67], 2.0, -v[40:41]
	v_fma_f64 v[66:67], v[68:69], 2.0, -v[50:51]
	;; [unrolled: 1-line block ×15, first 2 shown]
	v_fma_f64 v[46:47], v[50:51], s[4:5], v[52:53]
	v_fma_f64 v[76:77], v[64:65], s[12:13], v[62:63]
	v_fma_f64 v[70:71], v[70:71], 2.0, -v[72:73]
	v_fma_f64 v[54:55], v[54:55], 2.0, -v[87:88]
	;; [unrolled: 1-line block ×4, first 2 shown]
	v_fma_f64 v[34:35], v[58:59], s[8:9], v[48:49]
	v_fma_f64 v[36:37], v[40:41], s[8:9], v[66:67]
	;; [unrolled: 1-line block ×7, first 2 shown]
	v_add_f64 v[46:47], v[70:71], -v[54:55]
	v_add_f64 v[44:45], v[72:73], -v[80:81]
	v_fma_f64 v[34:35], v[40:41], s[12:13], v[34:35]
	v_fma_f64 v[32:33], v[58:59], s[6:7], v[36:37]
	;; [unrolled: 1-line block ×4, first 2 shown]
	v_add_f64 v[24:25], v[82:83], v[87:88]
	v_fma_f64 v[10:11], v[95:96], s[12:13], v[10:11]
	v_fma_f64 v[58:59], v[62:63], 2.0, -v[42:43]
	v_fma_f64 v[64:65], v[70:71], 2.0, -v[46:47]
	;; [unrolled: 1-line block ×9, first 2 shown]
	v_mov_b32_e32 v66, s3
	v_fma_f64 v[22:23], v[91:92], 2.0, -v[10:11]
	v_fma_f64 v[20:21], v[97:98], 2.0, -v[8:9]
	v_addc_co_u32_e32 v61, vcc, v66, v61, vcc
	v_fma_f64 v[16:17], v[84:85], 2.0, -v[4:5]
	v_add_co_u32_e32 v60, vcc, v60, v86
	v_addc_co_u32_e32 v61, vcc, 0, v61, vcc
	global_store_dwordx4 v[60:61], v[62:65], off
	global_store_dwordx4 v[60:61], v[56:59], off offset:208
	global_store_dwordx4 v[60:61], v[52:55], off offset:416
	;; [unrolled: 1-line block ×15, first 2 shown]
	s_endpgm
	.section	.rodata,"a",@progbits
	.p2align	6, 0x0
	.amdhsa_kernel fft_rtc_back_len208_factors_13_16_wgs_64_tpt_16_halfLds_dp_ip_CI_unitstride_sbrr_dirReg
		.amdhsa_group_segment_fixed_size 0
		.amdhsa_private_segment_fixed_size 0
		.amdhsa_kernarg_size 88
		.amdhsa_user_sgpr_count 6
		.amdhsa_user_sgpr_private_segment_buffer 1
		.amdhsa_user_sgpr_dispatch_ptr 0
		.amdhsa_user_sgpr_queue_ptr 0
		.amdhsa_user_sgpr_kernarg_segment_ptr 1
		.amdhsa_user_sgpr_dispatch_id 0
		.amdhsa_user_sgpr_flat_scratch_init 0
		.amdhsa_user_sgpr_private_segment_size 0
		.amdhsa_uses_dynamic_stack 0
		.amdhsa_system_sgpr_private_segment_wavefront_offset 0
		.amdhsa_system_sgpr_workgroup_id_x 1
		.amdhsa_system_sgpr_workgroup_id_y 0
		.amdhsa_system_sgpr_workgroup_id_z 0
		.amdhsa_system_sgpr_workgroup_info 0
		.amdhsa_system_vgpr_workitem_id 0
		.amdhsa_next_free_vgpr 118
		.amdhsa_next_free_sgpr 46
		.amdhsa_reserve_vcc 1
		.amdhsa_reserve_flat_scratch 0
		.amdhsa_float_round_mode_32 0
		.amdhsa_float_round_mode_16_64 0
		.amdhsa_float_denorm_mode_32 3
		.amdhsa_float_denorm_mode_16_64 3
		.amdhsa_dx10_clamp 1
		.amdhsa_ieee_mode 1
		.amdhsa_fp16_overflow 0
		.amdhsa_exception_fp_ieee_invalid_op 0
		.amdhsa_exception_fp_denorm_src 0
		.amdhsa_exception_fp_ieee_div_zero 0
		.amdhsa_exception_fp_ieee_overflow 0
		.amdhsa_exception_fp_ieee_underflow 0
		.amdhsa_exception_fp_ieee_inexact 0
		.amdhsa_exception_int_div_zero 0
	.end_amdhsa_kernel
	.text
.Lfunc_end0:
	.size	fft_rtc_back_len208_factors_13_16_wgs_64_tpt_16_halfLds_dp_ip_CI_unitstride_sbrr_dirReg, .Lfunc_end0-fft_rtc_back_len208_factors_13_16_wgs_64_tpt_16_halfLds_dp_ip_CI_unitstride_sbrr_dirReg
                                        ; -- End function
	.section	.AMDGPU.csdata,"",@progbits
; Kernel info:
; codeLenInByte = 7424
; NumSgprs: 50
; NumVgprs: 118
; ScratchSize: 0
; MemoryBound: 1
; FloatMode: 240
; IeeeMode: 1
; LDSByteSize: 0 bytes/workgroup (compile time only)
; SGPRBlocks: 6
; VGPRBlocks: 29
; NumSGPRsForWavesPerEU: 50
; NumVGPRsForWavesPerEU: 118
; Occupancy: 2
; WaveLimiterHint : 1
; COMPUTE_PGM_RSRC2:SCRATCH_EN: 0
; COMPUTE_PGM_RSRC2:USER_SGPR: 6
; COMPUTE_PGM_RSRC2:TRAP_HANDLER: 0
; COMPUTE_PGM_RSRC2:TGID_X_EN: 1
; COMPUTE_PGM_RSRC2:TGID_Y_EN: 0
; COMPUTE_PGM_RSRC2:TGID_Z_EN: 0
; COMPUTE_PGM_RSRC2:TIDIG_COMP_CNT: 0
	.type	__hip_cuid_a56ff54f74f2f7c8,@object ; @__hip_cuid_a56ff54f74f2f7c8
	.section	.bss,"aw",@nobits
	.globl	__hip_cuid_a56ff54f74f2f7c8
__hip_cuid_a56ff54f74f2f7c8:
	.byte	0                               ; 0x0
	.size	__hip_cuid_a56ff54f74f2f7c8, 1

	.ident	"AMD clang version 19.0.0git (https://github.com/RadeonOpenCompute/llvm-project roc-6.4.0 25133 c7fe45cf4b819c5991fe208aaa96edf142730f1d)"
	.section	".note.GNU-stack","",@progbits
	.addrsig
	.addrsig_sym __hip_cuid_a56ff54f74f2f7c8
	.amdgpu_metadata
---
amdhsa.kernels:
  - .args:
      - .actual_access:  read_only
        .address_space:  global
        .offset:         0
        .size:           8
        .value_kind:     global_buffer
      - .offset:         8
        .size:           8
        .value_kind:     by_value
      - .actual_access:  read_only
        .address_space:  global
        .offset:         16
        .size:           8
        .value_kind:     global_buffer
      - .actual_access:  read_only
        .address_space:  global
        .offset:         24
        .size:           8
        .value_kind:     global_buffer
      - .offset:         32
        .size:           8
        .value_kind:     by_value
      - .actual_access:  read_only
        .address_space:  global
        .offset:         40
        .size:           8
        .value_kind:     global_buffer
      - .actual_access:  read_only
        .address_space:  global
        .offset:         48
        .size:           8
        .value_kind:     global_buffer
      - .offset:         56
        .size:           4
        .value_kind:     by_value
      - .actual_access:  read_only
        .address_space:  global
        .offset:         64
        .size:           8
        .value_kind:     global_buffer
      - .actual_access:  read_only
        .address_space:  global
        .offset:         72
        .size:           8
        .value_kind:     global_buffer
      - .address_space:  global
        .offset:         80
        .size:           8
        .value_kind:     global_buffer
    .group_segment_fixed_size: 0
    .kernarg_segment_align: 8
    .kernarg_segment_size: 88
    .language:       OpenCL C
    .language_version:
      - 2
      - 0
    .max_flat_workgroup_size: 64
    .name:           fft_rtc_back_len208_factors_13_16_wgs_64_tpt_16_halfLds_dp_ip_CI_unitstride_sbrr_dirReg
    .private_segment_fixed_size: 0
    .sgpr_count:     50
    .sgpr_spill_count: 0
    .symbol:         fft_rtc_back_len208_factors_13_16_wgs_64_tpt_16_halfLds_dp_ip_CI_unitstride_sbrr_dirReg.kd
    .uniform_work_group_size: 1
    .uses_dynamic_stack: false
    .vgpr_count:     118
    .vgpr_spill_count: 0
    .wavefront_size: 64
amdhsa.target:   amdgcn-amd-amdhsa--gfx906
amdhsa.version:
  - 1
  - 2
...

	.end_amdgpu_metadata
